;; amdgpu-corpus repo=ROCm/rocFFT kind=compiled arch=gfx906 opt=O3
	.text
	.amdgcn_target "amdgcn-amd-amdhsa--gfx906"
	.amdhsa_code_object_version 6
	.protected	fft_rtc_fwd_len672_factors_2_2_2_2_2_3_7_wgs_56_tpt_56_halfLds_dp_op_CI_CI_sbrr_dirReg ; -- Begin function fft_rtc_fwd_len672_factors_2_2_2_2_2_3_7_wgs_56_tpt_56_halfLds_dp_op_CI_CI_sbrr_dirReg
	.globl	fft_rtc_fwd_len672_factors_2_2_2_2_2_3_7_wgs_56_tpt_56_halfLds_dp_op_CI_CI_sbrr_dirReg
	.p2align	8
	.type	fft_rtc_fwd_len672_factors_2_2_2_2_2_3_7_wgs_56_tpt_56_halfLds_dp_op_CI_CI_sbrr_dirReg,@function
fft_rtc_fwd_len672_factors_2_2_2_2_2_3_7_wgs_56_tpt_56_halfLds_dp_op_CI_CI_sbrr_dirReg: ; @fft_rtc_fwd_len672_factors_2_2_2_2_2_3_7_wgs_56_tpt_56_halfLds_dp_op_CI_CI_sbrr_dirReg
; %bb.0:
	s_load_dwordx4 s[16:19], s[4:5], 0x18
	s_load_dwordx4 s[8:11], s[4:5], 0x0
	;; [unrolled: 1-line block ×3, first 2 shown]
	v_mul_u32_u24_e32 v1, 0x493, v0
	v_add_u32_sdwa v6, s6, v1 dst_sel:DWORD dst_unused:UNUSED_PAD src0_sel:DWORD src1_sel:WORD_1
	s_waitcnt lgkmcnt(0)
	s_load_dwordx2 s[20:21], s[16:17], 0x0
	s_load_dwordx2 s[2:3], s[18:19], 0x0
	v_cmp_lt_u64_e64 s[0:1], s[10:11], 2
	v_mov_b32_e32 v1, 0
	v_mov_b32_e32 v4, 0
	;; [unrolled: 1-line block ×3, first 2 shown]
	s_and_b64 vcc, exec, s[0:1]
	v_mov_b32_e32 v5, 0
	s_cbranch_vccnz .LBB0_8
; %bb.1:
	s_load_dwordx2 s[0:1], s[4:5], 0x10
	s_add_u32 s6, s18, 8
	s_addc_u32 s7, s19, 0
	s_add_u32 s22, s16, 8
	v_mov_b32_e32 v4, 0
	s_addc_u32 s23, s17, 0
	v_mov_b32_e32 v5, 0
	s_waitcnt lgkmcnt(0)
	s_add_u32 s24, s0, 8
	v_mov_b32_e32 v49, v5
	s_addc_u32 s25, s1, 0
	s_mov_b64 s[26:27], 1
	v_mov_b32_e32 v48, v4
.LBB0_2:                                ; =>This Inner Loop Header: Depth=1
	s_load_dwordx2 s[28:29], s[24:25], 0x0
                                        ; implicit-def: $vgpr50_vgpr51
	s_waitcnt lgkmcnt(0)
	v_or_b32_e32 v2, s29, v7
	v_cmp_ne_u64_e32 vcc, 0, v[1:2]
	s_and_saveexec_b64 s[0:1], vcc
	s_xor_b64 s[30:31], exec, s[0:1]
	s_cbranch_execz .LBB0_4
; %bb.3:                                ;   in Loop: Header=BB0_2 Depth=1
	v_cvt_f32_u32_e32 v2, s28
	v_cvt_f32_u32_e32 v3, s29
	s_sub_u32 s0, 0, s28
	s_subb_u32 s1, 0, s29
	v_mac_f32_e32 v2, 0x4f800000, v3
	v_rcp_f32_e32 v2, v2
	v_mul_f32_e32 v2, 0x5f7ffffc, v2
	v_mul_f32_e32 v3, 0x2f800000, v2
	v_trunc_f32_e32 v3, v3
	v_mac_f32_e32 v2, 0xcf800000, v3
	v_cvt_u32_f32_e32 v3, v3
	v_cvt_u32_f32_e32 v2, v2
	v_mul_lo_u32 v8, s0, v3
	v_mul_hi_u32 v9, s0, v2
	v_mul_lo_u32 v11, s1, v2
	v_mul_lo_u32 v10, s0, v2
	v_add_u32_e32 v8, v9, v8
	v_add_u32_e32 v8, v8, v11
	v_mul_hi_u32 v9, v2, v10
	v_mul_lo_u32 v11, v2, v8
	v_mul_hi_u32 v13, v2, v8
	v_mul_hi_u32 v12, v3, v10
	v_mul_lo_u32 v10, v3, v10
	v_mul_hi_u32 v14, v3, v8
	v_add_co_u32_e32 v9, vcc, v9, v11
	v_addc_co_u32_e32 v11, vcc, 0, v13, vcc
	v_mul_lo_u32 v8, v3, v8
	v_add_co_u32_e32 v9, vcc, v9, v10
	v_addc_co_u32_e32 v9, vcc, v11, v12, vcc
	v_addc_co_u32_e32 v10, vcc, 0, v14, vcc
	v_add_co_u32_e32 v8, vcc, v9, v8
	v_addc_co_u32_e32 v9, vcc, 0, v10, vcc
	v_add_co_u32_e32 v2, vcc, v2, v8
	v_addc_co_u32_e32 v3, vcc, v3, v9, vcc
	v_mul_lo_u32 v8, s0, v3
	v_mul_hi_u32 v9, s0, v2
	v_mul_lo_u32 v10, s1, v2
	v_mul_lo_u32 v11, s0, v2
	v_add_u32_e32 v8, v9, v8
	v_add_u32_e32 v8, v8, v10
	v_mul_lo_u32 v12, v2, v8
	v_mul_hi_u32 v13, v2, v11
	v_mul_hi_u32 v14, v2, v8
	;; [unrolled: 1-line block ×3, first 2 shown]
	v_mul_lo_u32 v11, v3, v11
	v_mul_hi_u32 v9, v3, v8
	v_add_co_u32_e32 v12, vcc, v13, v12
	v_addc_co_u32_e32 v13, vcc, 0, v14, vcc
	v_mul_lo_u32 v8, v3, v8
	v_add_co_u32_e32 v11, vcc, v12, v11
	v_addc_co_u32_e32 v10, vcc, v13, v10, vcc
	v_addc_co_u32_e32 v9, vcc, 0, v9, vcc
	v_add_co_u32_e32 v8, vcc, v10, v8
	v_addc_co_u32_e32 v9, vcc, 0, v9, vcc
	v_add_co_u32_e32 v8, vcc, v2, v8
	v_addc_co_u32_e32 v9, vcc, v3, v9, vcc
	v_mad_u64_u32 v[2:3], s[0:1], v6, v9, 0
	v_mul_hi_u32 v10, v6, v8
	v_add_co_u32_e32 v10, vcc, v10, v2
	v_addc_co_u32_e32 v11, vcc, 0, v3, vcc
	v_mad_u64_u32 v[2:3], s[0:1], v7, v8, 0
	v_mad_u64_u32 v[8:9], s[0:1], v7, v9, 0
	v_add_co_u32_e32 v2, vcc, v10, v2
	v_addc_co_u32_e32 v2, vcc, v11, v3, vcc
	v_addc_co_u32_e32 v3, vcc, 0, v9, vcc
	v_add_co_u32_e32 v8, vcc, v2, v8
	v_addc_co_u32_e32 v9, vcc, 0, v3, vcc
	v_mul_lo_u32 v10, s29, v8
	v_mul_lo_u32 v11, s28, v9
	v_mad_u64_u32 v[2:3], s[0:1], s28, v8, 0
	v_add3_u32 v3, v3, v11, v10
	v_sub_u32_e32 v10, v7, v3
	v_mov_b32_e32 v11, s29
	v_sub_co_u32_e32 v2, vcc, v6, v2
	v_subb_co_u32_e64 v10, s[0:1], v10, v11, vcc
	v_subrev_co_u32_e64 v11, s[0:1], s28, v2
	v_subbrev_co_u32_e64 v10, s[0:1], 0, v10, s[0:1]
	v_cmp_le_u32_e64 s[0:1], s29, v10
	v_cndmask_b32_e64 v12, 0, -1, s[0:1]
	v_cmp_le_u32_e64 s[0:1], s28, v11
	v_cndmask_b32_e64 v11, 0, -1, s[0:1]
	v_cmp_eq_u32_e64 s[0:1], s29, v10
	v_cndmask_b32_e64 v10, v12, v11, s[0:1]
	v_add_co_u32_e64 v11, s[0:1], 2, v8
	v_addc_co_u32_e64 v12, s[0:1], 0, v9, s[0:1]
	v_add_co_u32_e64 v13, s[0:1], 1, v8
	v_addc_co_u32_e64 v14, s[0:1], 0, v9, s[0:1]
	v_subb_co_u32_e32 v3, vcc, v7, v3, vcc
	v_cmp_ne_u32_e64 s[0:1], 0, v10
	v_cmp_le_u32_e32 vcc, s29, v3
	v_cndmask_b32_e64 v10, v14, v12, s[0:1]
	v_cndmask_b32_e64 v12, 0, -1, vcc
	v_cmp_le_u32_e32 vcc, s28, v2
	v_cndmask_b32_e64 v2, 0, -1, vcc
	v_cmp_eq_u32_e32 vcc, s29, v3
	v_cndmask_b32_e32 v2, v12, v2, vcc
	v_cmp_ne_u32_e32 vcc, 0, v2
	v_cndmask_b32_e64 v2, v13, v11, s[0:1]
	v_cndmask_b32_e32 v51, v9, v10, vcc
	v_cndmask_b32_e32 v50, v8, v2, vcc
.LBB0_4:                                ;   in Loop: Header=BB0_2 Depth=1
	s_andn2_saveexec_b64 s[0:1], s[30:31]
	s_cbranch_execz .LBB0_6
; %bb.5:                                ;   in Loop: Header=BB0_2 Depth=1
	v_cvt_f32_u32_e32 v2, s28
	s_sub_i32 s30, 0, s28
	v_mov_b32_e32 v51, v1
	v_rcp_iflag_f32_e32 v2, v2
	v_mul_f32_e32 v2, 0x4f7ffffe, v2
	v_cvt_u32_f32_e32 v2, v2
	v_mul_lo_u32 v3, s30, v2
	v_mul_hi_u32 v3, v2, v3
	v_add_u32_e32 v2, v2, v3
	v_mul_hi_u32 v2, v6, v2
	v_mul_lo_u32 v3, v2, s28
	v_add_u32_e32 v8, 1, v2
	v_sub_u32_e32 v3, v6, v3
	v_subrev_u32_e32 v9, s28, v3
	v_cmp_le_u32_e32 vcc, s28, v3
	v_cndmask_b32_e32 v3, v3, v9, vcc
	v_cndmask_b32_e32 v2, v2, v8, vcc
	v_add_u32_e32 v8, 1, v2
	v_cmp_le_u32_e32 vcc, s28, v3
	v_cndmask_b32_e32 v50, v2, v8, vcc
.LBB0_6:                                ;   in Loop: Header=BB0_2 Depth=1
	s_or_b64 exec, exec, s[0:1]
	v_mul_lo_u32 v8, v51, s28
	v_mul_lo_u32 v9, v50, s29
	v_mad_u64_u32 v[2:3], s[0:1], v50, s28, 0
	s_load_dwordx2 s[0:1], s[22:23], 0x0
	s_load_dwordx2 s[28:29], s[6:7], 0x0
	v_add3_u32 v3, v3, v9, v8
	v_sub_co_u32_e32 v2, vcc, v6, v2
	v_subb_co_u32_e32 v3, vcc, v7, v3, vcc
	s_waitcnt lgkmcnt(0)
	v_mul_lo_u32 v6, s0, v3
	v_mul_lo_u32 v7, s1, v2
	v_mad_u64_u32 v[4:5], s[0:1], s0, v2, v[4:5]
	v_mul_lo_u32 v3, s28, v3
	v_mul_lo_u32 v8, s29, v2
	v_mad_u64_u32 v[48:49], s[0:1], s28, v2, v[48:49]
	s_add_u32 s26, s26, 1
	s_addc_u32 s27, s27, 0
	s_add_u32 s6, s6, 8
	v_add3_u32 v49, v8, v49, v3
	s_addc_u32 s7, s7, 0
	v_mov_b32_e32 v2, s10
	s_add_u32 s22, s22, 8
	v_mov_b32_e32 v3, s11
	s_addc_u32 s23, s23, 0
	v_cmp_ge_u64_e32 vcc, s[26:27], v[2:3]
	s_add_u32 s24, s24, 8
	v_add3_u32 v5, v7, v5, v6
	s_addc_u32 s25, s25, 0
	s_cbranch_vccnz .LBB0_9
; %bb.7:                                ;   in Loop: Header=BB0_2 Depth=1
	v_mov_b32_e32 v6, v50
	v_mov_b32_e32 v7, v51
	s_branch .LBB0_2
.LBB0_8:
	v_mov_b32_e32 v49, v5
	v_mov_b32_e32 v51, v7
	;; [unrolled: 1-line block ×4, first 2 shown]
.LBB0_9:
	s_load_dwordx2 s[0:1], s[4:5], 0x28
	s_lshl_b64 s[10:11], s[10:11], 3
	s_add_u32 s4, s18, s10
	s_addc_u32 s5, s19, s11
                                        ; implicit-def: $vgpr72
                                        ; implicit-def: $vgpr73
                                        ; implicit-def: $vgpr56
                                        ; implicit-def: $vgpr57
                                        ; implicit-def: $vgpr53
                                        ; implicit-def: $vgpr52
	s_waitcnt lgkmcnt(0)
	v_cmp_gt_u64_e32 vcc, s[0:1], v[50:51]
	v_cmp_le_u64_e64 s[0:1], s[0:1], v[50:51]
	s_and_saveexec_b64 s[6:7], s[0:1]
	s_xor_b64 s[0:1], exec, s[6:7]
; %bb.10:
	s_mov_b32 s6, 0x4924925
	v_mul_hi_u32 v1, v0, s6
                                        ; implicit-def: $vgpr4_vgpr5
	v_mul_u32_u24_e32 v1, 56, v1
	v_sub_u32_e32 v72, v0, v1
	v_add_u32_e32 v73, 56, v72
	v_add_u32_e32 v56, 0x70, v72
	;; [unrolled: 1-line block ×5, first 2 shown]
                                        ; implicit-def: $vgpr0
; %bb.11:
	s_or_saveexec_b64 s[6:7], s[0:1]
                                        ; implicit-def: $vgpr26_vgpr27
                                        ; implicit-def: $vgpr2_vgpr3
                                        ; implicit-def: $vgpr22_vgpr23
                                        ; implicit-def: $vgpr6_vgpr7
                                        ; implicit-def: $vgpr30_vgpr31
                                        ; implicit-def: $vgpr10_vgpr11
                                        ; implicit-def: $vgpr34_vgpr35
                                        ; implicit-def: $vgpr14_vgpr15
                                        ; implicit-def: $vgpr38_vgpr39
                                        ; implicit-def: $vgpr18_vgpr19
                                        ; implicit-def: $vgpr46_vgpr47
                                        ; implicit-def: $vgpr42_vgpr43
	s_xor_b64 exec, exec, s[6:7]
	s_cbranch_execz .LBB0_13
; %bb.12:
	s_add_u32 s0, s16, s10
	s_mov_b32 s10, 0x4924925
	s_addc_u32 s1, s17, s11
	v_mul_hi_u32 v1, v0, s10
	s_load_dwordx2 s[0:1], s[0:1], 0x0
	v_mul_u32_u24_e32 v1, 56, v1
	v_sub_u32_e32 v72, v0, v1
	s_waitcnt lgkmcnt(0)
	v_mul_lo_u32 v8, s1, v50
	v_mad_u64_u32 v[0:1], s[10:11], s20, v72, 0
	v_mul_lo_u32 v9, s0, v51
	v_mad_u64_u32 v[2:3], s[0:1], s0, v50, 0
	v_add_u32_e32 v73, 56, v72
	v_add_u32_e32 v56, 0x70, v72
	v_mad_u64_u32 v[6:7], s[0:1], s21, v72, v[1:2]
	v_add3_u32 v3, v3, v9, v8
	v_lshlrev_b64 v[2:3], 4, v[2:3]
	v_mov_b32_e32 v1, v6
	v_mov_b32_e32 v6, s13
	v_add_co_u32_e64 v7, s[0:1], s12, v2
	v_add_u32_e32 v8, 0x150, v72
	v_addc_co_u32_e64 v6, s[0:1], v6, v3, s[0:1]
	v_lshlrev_b64 v[2:3], 4, v[4:5]
	v_mad_u64_u32 v[4:5], s[0:1], s20, v8, 0
	v_add_co_u32_e64 v9, s[0:1], v7, v2
	v_mov_b32_e32 v2, v5
	v_addc_co_u32_e64 v10, s[0:1], v6, v3, s[0:1]
	v_mad_u64_u32 v[2:3], s[0:1], s21, v8, v[2:3]
	v_mad_u64_u32 v[6:7], s[0:1], s20, v73, 0
	v_lshlrev_b64 v[0:1], 4, v[0:1]
	v_mov_b32_e32 v5, v2
	v_add_co_u32_e64 v54, s[0:1], v9, v0
	v_mov_b32_e32 v2, v7
	v_addc_co_u32_e64 v55, s[0:1], v10, v1, s[0:1]
	v_lshlrev_b64 v[0:1], 4, v[4:5]
	v_mad_u64_u32 v[2:3], s[0:1], s21, v73, v[2:3]
	v_add_u32_e32 v5, 0x188, v72
	v_mad_u64_u32 v[3:4], s[0:1], s20, v5, 0
	v_add_co_u32_e64 v58, s[0:1], v9, v0
	v_mov_b32_e32 v7, v2
	v_mov_b32_e32 v2, v4
	v_addc_co_u32_e64 v59, s[0:1], v10, v1, s[0:1]
	v_mad_u64_u32 v[4:5], s[0:1], s21, v5, v[2:3]
	v_lshlrev_b64 v[0:1], 4, v[6:7]
	v_mad_u64_u32 v[5:6], s[0:1], s20, v56, 0
	v_add_co_u32_e64 v60, s[0:1], v9, v0
	v_mov_b32_e32 v2, v6
	v_addc_co_u32_e64 v61, s[0:1], v10, v1, s[0:1]
	v_lshlrev_b64 v[0:1], 4, v[3:4]
	v_mad_u64_u32 v[2:3], s[0:1], s21, v56, v[2:3]
	v_or_b32_e32 v7, 0x1c0, v72
	v_mad_u64_u32 v[3:4], s[0:1], s20, v7, 0
	v_add_co_u32_e64 v62, s[0:1], v9, v0
	v_mov_b32_e32 v6, v2
	v_mov_b32_e32 v2, v4
	v_addc_co_u32_e64 v63, s[0:1], v10, v1, s[0:1]
	v_lshlrev_b64 v[0:1], 4, v[5:6]
	v_mad_u64_u32 v[4:5], s[0:1], s21, v7, v[2:3]
	v_add_u32_e32 v57, 0xa8, v72
	v_mad_u64_u32 v[5:6], s[0:1], s20, v57, 0
	v_add_co_u32_e64 v64, s[0:1], v9, v0
	v_mov_b32_e32 v2, v6
	v_addc_co_u32_e64 v65, s[0:1], v10, v1, s[0:1]
	v_lshlrev_b64 v[0:1], 4, v[3:4]
	v_mad_u64_u32 v[2:3], s[0:1], s21, v57, v[2:3]
	v_add_u32_e32 v7, 0x1f8, v72
	v_mad_u64_u32 v[3:4], s[0:1], s20, v7, 0
	v_add_co_u32_e64 v66, s[0:1], v9, v0
	v_mov_b32_e32 v6, v2
	v_mov_b32_e32 v2, v4
	v_addc_co_u32_e64 v67, s[0:1], v10, v1, s[0:1]
	v_lshlrev_b64 v[0:1], 4, v[5:6]
	v_mad_u64_u32 v[4:5], s[0:1], s21, v7, v[2:3]
	v_add_u32_e32 v53, 0xe0, v72
	v_mad_u64_u32 v[5:6], s[0:1], s20, v53, 0
	v_add_co_u32_e64 v68, s[0:1], v9, v0
	v_mov_b32_e32 v2, v6
	v_addc_co_u32_e64 v69, s[0:1], v10, v1, s[0:1]
	v_lshlrev_b64 v[0:1], 4, v[3:4]
	v_mad_u64_u32 v[2:3], s[0:1], s21, v53, v[2:3]
	v_add_u32_e32 v7, 0x230, v72
	;; [unrolled: 15-line block ×3, first 2 shown]
	v_mad_u64_u32 v[3:4], s[0:1], s20, v7, 0
	v_add_co_u32_e64 v76, s[0:1], v9, v0
	v_mov_b32_e32 v6, v2
	v_mov_b32_e32 v2, v4
	v_addc_co_u32_e64 v77, s[0:1], v10, v1, s[0:1]
	v_lshlrev_b64 v[0:1], 4, v[5:6]
	v_mad_u64_u32 v[4:5], s[0:1], s21, v7, v[2:3]
	v_add_co_u32_e64 v78, s[0:1], v9, v0
	v_addc_co_u32_e64 v79, s[0:1], v10, v1, s[0:1]
	v_lshlrev_b64 v[0:1], 4, v[3:4]
	v_add_co_u32_e64 v80, s[0:1], v9, v0
	v_addc_co_u32_e64 v81, s[0:1], v10, v1, s[0:1]
	global_load_dwordx4 v[40:43], v[54:55], off
	global_load_dwordx4 v[44:47], v[58:59], off
	;; [unrolled: 1-line block ×12, first 2 shown]
.LBB0_13:
	s_or_b64 exec, exec, s[6:7]
	s_waitcnt vmcnt(8)
	v_add_f64 v[64:65], v[16:17], -v[36:37]
	v_add_f64 v[60:61], v[40:41], -v[44:45]
	s_waitcnt vmcnt(6)
	v_add_f64 v[68:69], v[12:13], -v[32:33]
	s_waitcnt vmcnt(4)
	v_add_f64 v[79:80], v[8:9], -v[28:29]
	v_add_f64 v[44:45], v[42:43], -v[46:47]
	s_waitcnt vmcnt(2)
	v_add_f64 v[83:84], v[4:5], -v[20:21]
	s_waitcnt vmcnt(0)
	v_add_f64 v[87:88], v[0:1], -v[24:25]
	v_add_f64 v[20:21], v[18:19], -v[38:39]
	v_fma_f64 v[62:63], v[16:17], 2.0, -v[64:65]
	v_add_f64 v[16:17], v[14:15], -v[34:35]
	v_add_f64 v[24:25], v[10:11], -v[30:31]
	v_add_f64 v[28:29], v[6:7], -v[22:23]
	v_add_f64 v[32:33], v[2:3], -v[26:27]
	v_fma_f64 v[58:59], v[40:41], 2.0, -v[60:61]
	v_fma_f64 v[66:67], v[12:13], 2.0, -v[68:69]
	v_fma_f64 v[77:78], v[8:9], 2.0, -v[79:80]
	v_fma_f64 v[42:43], v[42:43], 2.0, -v[44:45]
	v_fma_f64 v[81:82], v[4:5], 2.0, -v[83:84]
	v_fma_f64 v[85:86], v[0:1], 2.0, -v[87:88]
	v_fma_f64 v[18:19], v[18:19], 2.0, -v[20:21]
	v_fma_f64 v[14:15], v[14:15], 2.0, -v[16:17]
	v_lshl_add_u32 v70, v72, 4, 0
	v_lshlrev_b32_e32 v0, 3, v72
	v_fma_f64 v[22:23], v[10:11], 2.0, -v[24:25]
	v_lshl_add_u32 v13, v56, 4, 0
	v_sub_u32_e32 v74, v70, v0
	v_lshlrev_b32_e32 v0, 3, v56
	v_fma_f64 v[26:27], v[6:7], 2.0, -v[28:29]
	v_lshl_add_u32 v71, v57, 4, 0
	v_sub_u32_e32 v1, v13, v0
	v_lshlrev_b32_e32 v0, 3, v57
	v_fma_f64 v[30:31], v[2:3], 2.0, -v[32:33]
	v_lshl_add_u32 v76, v73, 4, 0
	ds_write_b128 v70, v[58:61]
	ds_write_b128 v76, v[62:65]
	ds_write_b128 v13, v[66:69]
	ds_write_b128 v71, v[77:80]
	v_lshl_add_u32 v77, v53, 4, 0
	v_sub_u32_e32 v4, v71, v0
	v_lshlrev_b32_e32 v0, 3, v53
	v_and_b32_e32 v95, 1, v72
	v_lshl_add_u32 v78, v52, 4, 0
	v_sub_u32_e32 v5, v77, v0
	v_lshlrev_b32_e32 v0, 3, v52
	v_add_u32_e32 v75, 0x800, v74
	v_lshlrev_b32_e32 v9, 3, v73
	v_lshlrev_b32_e32 v2, 4, v95
	ds_write_b128 v77, v[81:84]
	s_load_dwordx2 s[4:5], s[4:5], 0x0
	ds_write_b128 v78, v[85:88]
	s_waitcnt lgkmcnt(0)
	; wave barrier
	s_waitcnt lgkmcnt(0)
	v_sub_u32_e32 v12, v78, v0
	v_sub_u32_e32 v0, v76, v9
	v_add_u32_e32 v8, 0x1000, v74
	ds_read_b64 v[46:47], v74
	ds_read_b64 v[54:55], v0
	;; [unrolled: 1-line block ×6, first 2 shown]
	ds_read2_b64 v[34:37], v75 offset0:80 offset1:136
	ds_read2_b64 v[38:41], v75 offset0:192 offset1:248
	;; [unrolled: 1-line block ×3, first 2 shown]
	s_waitcnt lgkmcnt(0)
	; wave barrier
	s_waitcnt lgkmcnt(0)
	ds_write_b128 v70, v[42:45]
	ds_write_b128 v76, v[18:21]
	;; [unrolled: 1-line block ×6, first 2 shown]
	s_waitcnt lgkmcnt(0)
	; wave barrier
	s_waitcnt lgkmcnt(0)
	global_load_dwordx4 v[13:16], v2, s[8:9]
	s_movk_i32 s1, 0xfc
	v_lshlrev_b32_e32 v3, 1, v73
	v_and_or_b32 v10, v3, s1, v95
	v_lshl_add_u32 v97, v10, 3, 0
	ds_read2_b64 v[17:20], v75 offset0:80 offset1:136
	ds_read2_b64 v[21:24], v75 offset0:192 offset1:248
	;; [unrolled: 1-line block ×3, first 2 shown]
	ds_read_b64 v[29:30], v74
	ds_read_b64 v[31:32], v0
	;; [unrolled: 1-line block ×6, first 2 shown]
	v_lshlrev_b32_e32 v2, 1, v72
	s_movk_i32 s0, 0x7c
	v_and_or_b32 v7, v2, s0, v95
	s_movk_i32 s6, 0x1fc
	v_lshlrev_b32_e32 v6, 1, v56
	v_lshl_add_u32 v96, v7, 3, 0
	s_waitcnt lgkmcnt(0)
	; wave barrier
	s_waitcnt lgkmcnt(0)
	v_and_or_b32 v7, v6, s6, v95
	s_movk_i32 s0, 0x3fc
	s_movk_i32 s1, 0xf8
	v_and_b32_e32 v104, 15, v52
	v_and_b32_e32 v113, 31, v73
	;; [unrolled: 1-line block ×5, first 2 shown]
	s_mov_b32 s11, 0xbfebb67a
	v_sub_u32_e32 v9, 0, v9
	v_add_u32_e32 v76, v76, v9
	s_waitcnt vmcnt(0)
	v_mul_f64 v[10:11], v[17:18], v[15:16]
	v_mul_f64 v[79:80], v[19:20], v[15:16]
	;; [unrolled: 1-line block ×8, first 2 shown]
	v_fma_f64 v[10:11], v[34:35], v[13:14], -v[10:11]
	v_fma_f64 v[33:34], v[36:37], v[13:14], -v[79:80]
	v_mul_f64 v[35:36], v[40:41], v[15:16]
	v_mul_f64 v[79:80], v[25:26], v[15:16]
	v_fma_f64 v[37:38], v[38:39], v[13:14], -v[85:86]
	v_fma_f64 v[39:40], v[40:41], v[13:14], -v[87:88]
	v_mul_f64 v[93:94], v[58:59], v[15:16]
	v_mul_f64 v[15:16], v[60:61], v[15:16]
	v_add_f64 v[10:11], v[46:47], -v[10:11]
	v_add_f64 v[33:34], v[54:55], -v[33:34]
	v_fma_f64 v[23:24], v[23:24], v[13:14], v[35:36]
	v_fma_f64 v[17:18], v[17:18], v[13:14], v[81:82]
	v_add_f64 v[37:38], v[62:63], -v[37:38]
	v_add_f64 v[39:40], v[64:65], -v[39:40]
	v_fma_f64 v[19:20], v[19:20], v[13:14], v[83:84]
	v_fma_f64 v[21:22], v[21:22], v[13:14], v[89:90]
	v_fma_f64 v[35:36], v[46:47], 2.0, -v[10:11]
	v_fma_f64 v[46:47], v[54:55], 2.0, -v[33:34]
	v_fma_f64 v[54:55], v[58:59], v[13:14], -v[79:80]
	v_fma_f64 v[58:59], v[60:61], v[13:14], -v[91:92]
	v_fma_f64 v[25:26], v[25:26], v[13:14], v[93:94]
	v_fma_f64 v[13:14], v[27:28], v[13:14], v[15:16]
	v_add_f64 v[27:28], v[29:30], -v[17:18]
	v_fma_f64 v[60:61], v[62:63], 2.0, -v[37:38]
	ds_write2_b64 v96, v[35:36], v[10:11] offset1:2
	ds_write2_b64 v97, v[46:47], v[33:34] offset1:2
	v_fma_f64 v[10:11], v[64:65], 2.0, -v[39:40]
	v_add_f64 v[15:16], v[66:67], -v[54:55]
	v_add_f64 v[17:18], v[68:69], -v[58:59]
	v_lshl_add_u32 v79, v7, 3, 0
	v_lshlrev_b32_e32 v7, 1, v57
	v_and_or_b32 v33, v7, s6, v95
	v_lshl_add_u32 v55, v33, 3, 0
	ds_write2_b64 v79, v[60:61], v[37:38] offset1:2
	ds_write2_b64 v55, v[10:11], v[39:40] offset1:2
	v_fma_f64 v[33:34], v[66:67], 2.0, -v[15:16]
	v_fma_f64 v[35:36], v[68:69], 2.0, -v[17:18]
	v_lshlrev_b32_e32 v11, 1, v53
	v_and_or_b32 v37, v11, s0, v95
	v_lshlrev_b32_e32 v10, 1, v52
	v_lshl_add_u32 v80, v37, 3, 0
	s_movk_i32 s0, 0x2fc
	v_add_f64 v[37:38], v[44:45], -v[23:24]
	ds_write2_b64 v80, v[33:34], v[15:16] offset1:2
	v_and_or_b32 v15, v10, s0, v95
	v_lshl_add_u32 v81, v15, 3, 0
	v_add_f64 v[33:34], v[31:32], -v[19:20]
	ds_write2_b64 v81, v[35:36], v[17:18] offset1:2
	v_add_f64 v[35:36], v[42:43], -v[21:22]
	v_add_f64 v[25:26], v[70:71], -v[25:26]
	;; [unrolled: 1-line block ×3, first 2 shown]
	v_fma_f64 v[29:30], v[29:30], 2.0, -v[27:28]
	s_waitcnt lgkmcnt(0)
	; wave barrier
	s_waitcnt lgkmcnt(0)
	v_fma_f64 v[31:32], v[31:32], 2.0, -v[33:34]
	ds_read_b64 v[46:47], v74
	ds_read_b64 v[53:54], v0
	;; [unrolled: 1-line block ×6, first 2 shown]
	v_fma_f64 v[41:42], v[42:43], 2.0, -v[35:36]
	v_fma_f64 v[43:44], v[44:45], 2.0, -v[37:38]
	;; [unrolled: 1-line block ×4, first 2 shown]
	ds_read2_b64 v[13:16], v75 offset0:80 offset1:136
	ds_read2_b64 v[17:20], v75 offset0:192 offset1:248
	ds_read2_b64 v[21:24], v8 offset0:48 offset1:104
	s_waitcnt lgkmcnt(0)
	; wave barrier
	s_waitcnt lgkmcnt(0)
	ds_write2_b64 v96, v[29:30], v[27:28] offset1:2
	ds_write2_b64 v97, v[31:32], v[33:34] offset1:2
	;; [unrolled: 1-line block ×6, first 2 shown]
	v_and_b32_e32 v55, 3, v72
	v_lshlrev_b32_e32 v25, 4, v55
	s_waitcnt lgkmcnt(0)
	; wave barrier
	s_waitcnt lgkmcnt(0)
	global_load_dwordx4 v[25:28], v25, s[8:9] offset:32
	s_movk_i32 s0, 0x78
	v_and_or_b32 v29, v2, s0, v55
	v_and_or_b32 v30, v3, s1, v55
	v_lshl_add_u32 v98, v29, 3, 0
	v_lshl_add_u32 v99, v30, 3, 0
	ds_read2_b64 v[29:32], v75 offset0:80 offset1:136
	ds_read2_b64 v[33:36], v75 offset0:192 offset1:248
	;; [unrolled: 1-line block ×3, first 2 shown]
	ds_read_b64 v[41:42], v74
	ds_read_b64 v[43:44], v0
	;; [unrolled: 1-line block ×6, first 2 shown]
	s_waitcnt lgkmcnt(0)
	; wave barrier
	s_waitcnt lgkmcnt(0)
	s_movk_i32 s6, 0x1f8
	v_and_or_b32 v97, v6, s6, v55
	s_movk_i32 s0, 0x3f8
	s_movk_i32 s1, 0xf0
	s_waitcnt vmcnt(0)
	v_mul_f64 v[79:80], v[29:30], v[27:28]
	v_mul_f64 v[81:82], v[31:32], v[27:28]
	;; [unrolled: 1-line block ×8, first 2 shown]
	v_fma_f64 v[13:14], v[13:14], v[25:26], -v[79:80]
	v_fma_f64 v[15:16], v[15:16], v[25:26], -v[81:82]
	;; [unrolled: 1-line block ×3, first 2 shown]
	v_mul_f64 v[79:80], v[39:40], v[27:28]
	v_mul_f64 v[93:94], v[19:20], v[27:28]
	v_fma_f64 v[19:20], v[19:20], v[25:26], -v[89:90]
	v_mul_f64 v[81:82], v[21:22], v[27:28]
	v_mul_f64 v[27:28], v[23:24], v[27:28]
	v_add_f64 v[13:14], v[46:47], -v[13:14]
	v_add_f64 v[15:16], v[53:54], -v[15:16]
	v_fma_f64 v[21:22], v[21:22], v[25:26], -v[95:96]
	v_add_f64 v[17:18], v[58:59], -v[17:18]
	v_fma_f64 v[29:30], v[29:30], v[25:26], v[83:84]
	v_fma_f64 v[23:24], v[23:24], v[25:26], -v[79:80]
	v_fma_f64 v[31:32], v[31:32], v[25:26], v[85:86]
	v_add_f64 v[19:20], v[60:61], -v[19:20]
	v_fma_f64 v[45:46], v[46:47], 2.0, -v[13:14]
	v_fma_f64 v[53:54], v[53:54], 2.0, -v[15:16]
	v_fma_f64 v[33:34], v[33:34], v[25:26], v[91:92]
	v_fma_f64 v[35:36], v[35:36], v[25:26], v[93:94]
	;; [unrolled: 1-line block ×4, first 2 shown]
	v_add_f64 v[21:22], v[62:63], -v[21:22]
	v_fma_f64 v[27:28], v[58:59], 2.0, -v[17:18]
	ds_write2_b64 v98, v[45:46], v[13:14] offset1:4
	ds_write2_b64 v99, v[53:54], v[15:16] offset1:4
	v_add_f64 v[29:30], v[41:42], -v[29:30]
	v_add_f64 v[13:14], v[64:65], -v[23:24]
	v_fma_f64 v[39:40], v[60:61], 2.0, -v[19:20]
	v_add_f64 v[31:32], v[43:44], -v[31:32]
	v_add_f64 v[33:34], v[66:67], -v[33:34]
	;; [unrolled: 1-line block ×5, first 2 shown]
	v_lshl_add_u32 v47, v97, 3, 0
	v_fma_f64 v[15:16], v[62:63], 2.0, -v[21:22]
	ds_write2_b64 v47, v[27:28], v[17:18] offset1:4
	v_and_or_b32 v17, v7, s6, v55
	v_lshl_add_u32 v79, v17, 3, 0
	v_fma_f64 v[27:28], v[41:42], 2.0, -v[29:30]
	v_fma_f64 v[17:18], v[64:65], 2.0, -v[13:14]
	ds_write2_b64 v79, v[39:40], v[19:20] offset1:4
	v_fma_f64 v[39:40], v[43:44], 2.0, -v[31:32]
	v_fma_f64 v[43:44], v[66:67], 2.0, -v[33:34]
	;; [unrolled: 1-line block ×3, first 2 shown]
	v_and_or_b32 v19, v11, s0, v55
	v_fma_f64 v[66:67], v[70:71], 2.0, -v[37:38]
	v_lshl_add_u32 v80, v19, 3, 0
	s_movk_i32 s0, 0x2f8
	v_fma_f64 v[68:69], v[77:78], 2.0, -v[25:26]
	ds_write2_b64 v80, v[15:16], v[21:22] offset1:4
	v_and_or_b32 v15, v10, s0, v55
	v_lshl_add_u32 v55, v15, 3, 0
	ds_write2_b64 v55, v[17:18], v[13:14] offset1:4
	s_waitcnt lgkmcnt(0)
	; wave barrier
	s_waitcnt lgkmcnt(0)
	ds_read_b64 v[41:42], v74
	ds_read_b64 v[45:46], v0
	;; [unrolled: 1-line block ×6, first 2 shown]
	ds_read2_b64 v[13:16], v75 offset0:80 offset1:136
	ds_read2_b64 v[17:20], v75 offset0:192 offset1:248
	;; [unrolled: 1-line block ×3, first 2 shown]
	s_waitcnt lgkmcnt(0)
	; wave barrier
	s_waitcnt lgkmcnt(0)
	ds_write2_b64 v98, v[27:28], v[29:30] offset1:4
	ds_write2_b64 v99, v[39:40], v[31:32] offset1:4
	;; [unrolled: 1-line block ×6, first 2 shown]
	v_and_b32_e32 v47, 7, v72
	v_lshlrev_b32_e32 v25, 4, v47
	s_waitcnt lgkmcnt(0)
	; wave barrier
	s_waitcnt lgkmcnt(0)
	global_load_dwordx4 v[25:28], v25, s[8:9] offset:96
	s_movk_i32 s0, 0x70
	s_movk_i32 s6, 0x1f0
	v_and_or_b32 v29, v2, s0, v47
	v_and_or_b32 v30, v3, s1, v47
	v_and_or_b32 v31, v6, s6, v47
	v_lshl_add_u32 v101, v29, 3, 0
	v_lshl_add_u32 v102, v30, 3, 0
	;; [unrolled: 1-line block ×3, first 2 shown]
	ds_read2_b64 v[29:32], v75 offset0:80 offset1:136
	ds_read2_b64 v[33:36], v75 offset0:192 offset1:248
	ds_read2_b64 v[37:40], v8 offset0:48 offset1:104
	ds_read_b64 v[43:44], v74
	ds_read_b64 v[64:65], v0
	;; [unrolled: 1-line block ×6, first 2 shown]
	v_and_or_b32 v55, v7, s6, v47
	s_movk_i32 s0, 0x3f0
	s_waitcnt lgkmcnt(0)
	; wave barrier
	s_waitcnt lgkmcnt(0)
	v_lshl_add_u32 v55, v55, 3, 0
	s_movk_i32 s1, 0xe0
	s_movk_i32 s6, 0x1e0
	s_waitcnt vmcnt(0)
	v_mul_f64 v[79:80], v[29:30], v[27:28]
	v_mul_f64 v[81:82], v[31:32], v[27:28]
	v_mul_f64 v[89:90], v[35:36], v[27:28]
	v_mul_f64 v[87:88], v[33:34], v[27:28]
	v_mul_f64 v[95:96], v[37:38], v[27:28]
	v_mul_f64 v[83:84], v[13:14], v[27:28]
	v_mul_f64 v[85:86], v[15:16], v[27:28]
	v_mul_f64 v[93:94], v[19:20], v[27:28]
	v_fma_f64 v[13:14], v[13:14], v[25:26], -v[79:80]
	v_mul_f64 v[97:98], v[39:40], v[27:28]
	v_fma_f64 v[15:16], v[15:16], v[25:26], -v[81:82]
	v_fma_f64 v[19:20], v[19:20], v[25:26], -v[89:90]
	v_mul_f64 v[91:92], v[17:18], v[27:28]
	v_mul_f64 v[99:100], v[21:22], v[27:28]
	v_fma_f64 v[17:18], v[17:18], v[25:26], -v[87:88]
	v_fma_f64 v[21:22], v[21:22], v[25:26], -v[95:96]
	v_mul_f64 v[27:28], v[23:24], v[27:28]
	v_add_f64 v[13:14], v[41:42], -v[13:14]
	v_fma_f64 v[29:30], v[29:30], v[25:26], v[83:84]
	v_add_f64 v[15:16], v[45:46], -v[15:16]
	v_add_f64 v[19:20], v[58:59], -v[19:20]
	v_fma_f64 v[23:24], v[23:24], v[25:26], -v[97:98]
	v_fma_f64 v[31:32], v[31:32], v[25:26], v[85:86]
	v_add_f64 v[17:18], v[53:54], -v[17:18]
	v_add_f64 v[21:22], v[60:61], -v[21:22]
	v_fma_f64 v[33:34], v[33:34], v[25:26], v[91:92]
	v_fma_f64 v[35:36], v[35:36], v[25:26], v[93:94]
	;; [unrolled: 1-line block ×4, first 2 shown]
	v_fma_f64 v[41:42], v[41:42], 2.0, -v[13:14]
	v_fma_f64 v[45:46], v[45:46], 2.0, -v[15:16]
	;; [unrolled: 1-line block ×3, first 2 shown]
	v_add_f64 v[29:30], v[43:44], -v[29:30]
	v_add_f64 v[23:24], v[62:63], -v[23:24]
	v_fma_f64 v[53:54], v[53:54], 2.0, -v[17:18]
	v_fma_f64 v[39:40], v[60:61], 2.0, -v[21:22]
	v_add_f64 v[31:32], v[64:65], -v[31:32]
	v_add_f64 v[33:34], v[66:67], -v[33:34]
	;; [unrolled: 1-line block ×5, first 2 shown]
	ds_write2_b64 v101, v[41:42], v[13:14] offset1:8
	ds_write2_b64 v102, v[45:46], v[15:16] offset1:8
	;; [unrolled: 1-line block ×3, first 2 shown]
	v_and_or_b32 v15, v11, s0, v47
	ds_write2_b64 v55, v[27:28], v[19:20] offset1:8
	v_fma_f64 v[27:28], v[43:44], 2.0, -v[29:30]
	v_fma_f64 v[13:14], v[62:63], 2.0, -v[23:24]
	v_lshl_add_u32 v60, v15, 3, 0
	ds_write2_b64 v60, v[39:40], v[21:22] offset1:8
	v_fma_f64 v[39:40], v[64:65], 2.0, -v[31:32]
	v_fma_f64 v[41:42], v[66:67], 2.0, -v[33:34]
	;; [unrolled: 1-line block ×4, first 2 shown]
	s_movk_i32 s0, 0x2f0
	v_fma_f64 v[58:59], v[77:78], 2.0, -v[25:26]
	v_and_or_b32 v15, v10, s0, v47
	v_lshl_add_u32 v47, v15, 3, 0
	ds_write2_b64 v47, v[13:14], v[23:24] offset1:8
	s_waitcnt lgkmcnt(0)
	; wave barrier
	s_waitcnt lgkmcnt(0)
	ds_read_b64 v[45:46], v74
	ds_read_b64 v[62:63], v0
	;; [unrolled: 1-line block ×6, first 2 shown]
	ds_read2_b64 v[13:16], v75 offset0:80 offset1:136
	ds_read2_b64 v[17:20], v75 offset0:192 offset1:248
	;; [unrolled: 1-line block ×3, first 2 shown]
	s_waitcnt lgkmcnt(0)
	; wave barrier
	s_waitcnt lgkmcnt(0)
	ds_write2_b64 v101, v[27:28], v[29:30] offset1:8
	ds_write2_b64 v102, v[39:40], v[31:32] offset1:8
	;; [unrolled: 1-line block ×6, first 2 shown]
	v_and_b32_e32 v41, 15, v73
	v_lshlrev_b32_e32 v33, 4, v41
	v_and_b32_e32 v47, 15, v72
	s_waitcnt lgkmcnt(0)
	; wave barrier
	s_waitcnt lgkmcnt(0)
	v_lshlrev_b32_e32 v34, 4, v47
	global_load_dwordx4 v[25:28], v33, s[8:9] offset:224
	global_load_dwordx4 v[29:32], v34, s[8:9] offset:224
	v_and_b32_e32 v103, 15, v57
	v_lshlrev_b32_e32 v33, 4, v103
	global_load_dwordx4 v[33:36], v33, s[8:9] offset:224
	v_lshlrev_b32_e32 v37, 4, v104
	global_load_dwordx4 v[37:40], v37, s[8:9] offset:224
	s_movk_i32 s0, 0x60
	v_and_or_b32 v2, v2, s0, v47
	v_and_or_b32 v3, v3, s1, v41
	v_lshl_add_u32 v105, v2, 3, 0
	v_lshl_add_u32 v106, v3, 3, 0
	ds_read2_b64 v[41:44], v75 offset0:80 offset1:136
	ds_read2_b64 v[52:55], v75 offset0:192 offset1:248
	;; [unrolled: 1-line block ×3, first 2 shown]
	ds_read_b64 v[2:3], v12
	ds_read_b64 v[64:65], v5
	;; [unrolled: 1-line block ×6, first 2 shown]
	v_and_or_b32 v6, v6, s6, v47
	v_lshl_add_u32 v107, v6, 3, 0
	s_waitcnt lgkmcnt(0)
	; wave barrier
	s_waitcnt lgkmcnt(0)
	v_and_or_b32 v6, v7, s6, v103
	s_movk_i32 s1, 0x3e0
	s_mov_b32 s6, 0xe8584caa
	s_mov_b32 s7, 0x3febb67a
	;; [unrolled: 1-line block ×3, first 2 shown]
	s_waitcnt vmcnt(3)
	v_mul_f64 v[87:88], v[43:44], v[27:28]
	s_waitcnt vmcnt(2)
	v_mul_f64 v[89:90], v[41:42], v[31:32]
	v_mul_f64 v[95:96], v[52:53], v[31:32]
	v_mul_f64 v[91:92], v[13:14], v[31:32]
	s_waitcnt vmcnt(1)
	v_mul_f64 v[93:94], v[54:55], v[35:36]
	v_mul_f64 v[99:100], v[58:59], v[31:32]
	v_mul_f64 v[27:28], v[15:16], v[27:28]
	s_waitcnt vmcnt(0)
	v_mul_f64 v[101:102], v[60:61], v[39:40]
	v_mul_f64 v[97:98], v[17:18], v[31:32]
	v_fma_f64 v[12:13], v[13:14], v[29:30], -v[89:90]
	v_fma_f64 v[14:15], v[15:16], v[25:26], -v[87:88]
	;; [unrolled: 1-line block ×3, first 2 shown]
	v_mul_f64 v[35:36], v[19:20], v[35:36]
	v_mul_f64 v[31:32], v[21:22], v[31:32]
	v_fma_f64 v[18:19], v[19:20], v[33:34], -v[93:94]
	v_fma_f64 v[20:21], v[21:22], v[29:30], -v[99:100]
	v_mul_f64 v[39:40], v[23:24], v[39:40]
	v_add_f64 v[12:13], v[45:46], -v[12:13]
	v_add_f64 v[14:15], v[62:63], -v[14:15]
	v_fma_f64 v[22:23], v[23:24], v[37:38], -v[101:102]
	v_add_f64 v[16:17], v[79:80], -v[16:17]
	v_fma_f64 v[43:44], v[43:44], v[25:26], v[27:28]
	v_fma_f64 v[25:26], v[41:42], v[29:30], v[91:92]
	;; [unrolled: 1-line block ×5, first 2 shown]
	v_add_f64 v[18:19], v[81:82], -v[18:19]
	v_fma_f64 v[30:31], v[45:46], 2.0, -v[12:13]
	v_add_f64 v[20:21], v[83:84], -v[20:21]
	v_fma_f64 v[41:42], v[62:63], 2.0, -v[14:15]
	;; [unrolled: 2-line block ×3, first 2 shown]
	v_add_f64 v[52:53], v[66:67], -v[25:26]
	ds_write2_b64 v105, v[30:31], v[12:13] offset1:16
	ds_write2_b64 v106, v[41:42], v[14:15] offset1:16
	;; [unrolled: 1-line block ×3, first 2 shown]
	v_fma_f64 v[24:25], v[81:82], 2.0, -v[18:19]
	v_fma_f64 v[14:15], v[83:84], 2.0, -v[20:21]
	v_fma_f64 v[16:17], v[85:86], 2.0, -v[22:23]
	v_fma_f64 v[37:38], v[60:61], v[37:38], v[39:40]
	v_lshl_add_u32 v45, v6, 3, 0
	v_and_or_b32 v6, v11, s1, v47
	s_movk_i32 s1, 0x2e0
	v_lshl_add_u32 v46, v6, 3, 0
	v_and_or_b32 v6, v10, s1, v104
	ds_write2_b64 v45, v[24:25], v[18:19] offset1:16
	ds_write2_b64 v46, v[14:15], v[20:21] offset1:16
	v_lshl_add_u32 v47, v6, 3, 0
	v_add_f64 v[14:15], v[68:69], -v[43:44]
	ds_write2_b64 v47, v[16:17], v[22:23] offset1:16
	v_add_f64 v[16:17], v[70:71], -v[35:36]
	v_add_f64 v[18:19], v[77:78], -v[33:34]
	;; [unrolled: 1-line block ×4, first 2 shown]
	v_fma_f64 v[12:13], v[66:67], 2.0, -v[52:53]
	s_waitcnt lgkmcnt(0)
	v_fma_f64 v[36:37], v[68:69], 2.0, -v[14:15]
	; wave barrier
	v_fma_f64 v[38:39], v[70:71], 2.0, -v[16:17]
	v_fma_f64 v[40:41], v[77:78], 2.0, -v[18:19]
	;; [unrolled: 1-line block ×4, first 2 shown]
	ds_read_b64 v[6:7], v74
	ds_read2_b64 v[24:27], v75 offset0:136 offset1:192
	v_add_u32_e32 v85, 0xc00, v74
	ds_read_b64 v[10:11], v5
	ds_read_b64 v[93:94], v4
	;; [unrolled: 1-line block ×4, first 2 shown]
	ds_read_b64 v[62:63], v74 offset:4928
	ds_read2_b64 v[28:31], v75 offset0:24 offset1:80
	ds_read2_b64 v[32:35], v85 offset0:120 offset1:176
	s_waitcnt lgkmcnt(0)
	; wave barrier
	s_waitcnt lgkmcnt(0)
	ds_write2_b64 v105, v[12:13], v[52:53] offset1:16
	ds_write2_b64 v106, v[36:37], v[14:15] offset1:16
	;; [unrolled: 1-line block ×6, first 2 shown]
	v_lshlrev_b32_e32 v2, 5, v113
	s_waitcnt lgkmcnt(0)
	; wave barrier
	s_waitcnt lgkmcnt(0)
	v_lshlrev_b32_e32 v3, 5, v114
	global_load_dwordx4 v[36:39], v2, s[8:9] offset:480
	global_load_dwordx4 v[40:43], v2, s[8:9] offset:496
	;; [unrolled: 1-line block ×4, first 2 shown]
	v_lshlrev_b32_e32 v2, 5, v115
	global_load_dwordx4 v[58:61], v2, s[8:9] offset:480
	global_load_dwordx4 v[64:67], v2, s[8:9] offset:496
	v_lshlrev_b32_e32 v2, 5, v116
	global_load_dwordx4 v[77:80], v2, s[8:9] offset:496
	global_load_dwordx4 v[81:84], v2, s[8:9] offset:480
	ds_read2_b64 v[68:71], v75 offset0:24 offset1:80
	ds_read2_b64 v[85:88], v85 offset0:120 offset1:176
	;; [unrolled: 1-line block ×3, first 2 shown]
	ds_read_b64 v[2:3], v5
	ds_read_b64 v[12:13], v4
	;; [unrolled: 1-line block ×4, first 2 shown]
	ds_read_b64 v[0:1], v74 offset:4928
	ds_read_b64 v[22:23], v74
	s_waitcnt lgkmcnt(0)
	; wave barrier
	s_waitcnt vmcnt(7) lgkmcnt(0)
	v_mul_f64 v[4:5], v[68:69], v[38:39]
	v_mul_f64 v[38:39], v[28:29], v[38:39]
	s_waitcnt vmcnt(5)
	v_mul_f64 v[99:100], v[70:71], v[46:47]
	s_waitcnt vmcnt(4)
	;; [unrolled: 2-line block ×4, first 2 shown]
	v_mul_f64 v[20:21], v[0:1], v[66:67]
	v_mul_f64 v[107:108], v[34:35], v[54:55]
	s_waitcnt vmcnt(1)
	v_mul_f64 v[54:55], v[91:92], v[79:80]
	s_waitcnt vmcnt(0)
	v_mul_f64 v[111:112], v[2:3], v[83:84]
	v_mul_f64 v[46:47], v[30:31], v[46:47]
	;; [unrolled: 1-line block ×4, first 2 shown]
	v_fma_f64 v[18:19], v[24:25], v[58:59], -v[18:19]
	v_fma_f64 v[20:21], v[62:63], v[64:65], -v[20:21]
	v_mul_f64 v[24:25], v[62:63], v[66:67]
	v_mul_f64 v[83:84], v[10:11], v[83:84]
	v_fma_f64 v[62:63], v[68:69], v[36:37], v[38:39]
	v_fma_f64 v[66:67], v[26:27], v[77:78], -v[54:55]
	v_fma_f64 v[68:69], v[10:11], v[81:82], -v[111:112]
	v_mul_f64 v[101:102], v[85:86], v[42:43]
	v_mul_f64 v[103:104], v[32:33], v[42:43]
	v_fma_f64 v[60:61], v[28:29], v[36:37], -v[4:5]
	v_fma_f64 v[42:43], v[30:31], v[44:45], -v[99:100]
	v_fma_f64 v[46:47], v[70:71], v[44:45], v[46:47]
	v_fma_f64 v[44:45], v[89:90], v[58:59], v[109:110]
	v_add_f64 v[4:5], v[18:19], v[20:21]
	v_fma_f64 v[36:37], v[0:1], v[64:65], v[24:25]
	v_fma_f64 v[58:59], v[91:92], v[77:78], v[79:80]
	v_add_f64 v[24:25], v[68:69], v[66:67]
	v_fma_f64 v[70:71], v[2:3], v[81:82], v[83:84]
	v_fma_f64 v[64:65], v[32:33], v[40:41], -v[101:102]
	v_add_f64 v[26:27], v[6:7], v[68:69]
	v_fma_f64 v[40:41], v[85:86], v[40:41], v[103:104]
	v_fma_f64 v[4:5], v[4:5], -0.5, v[93:94]
	v_add_f64 v[10:11], v[44:45], -v[36:37]
	v_fma_f64 v[54:55], v[34:35], v[52:53], -v[105:106]
	v_fma_f64 v[6:7], v[24:25], -0.5, v[6:7]
	v_add_f64 v[24:25], v[70:71], -v[58:59]
	v_fma_f64 v[38:39], v[87:88], v[52:53], v[107:108]
	v_add_f64 v[28:29], v[97:98], v[60:61]
	v_add_f64 v[30:31], v[62:63], -v[40:41]
	v_add_u32_e32 v81, 0x400, v74
	v_fma_f64 v[0:1], v[10:11], s[6:7], v[4:5]
	v_fma_f64 v[2:3], v[10:11], s[10:11], v[4:5]
	v_add_f64 v[4:5], v[60:61], v[64:65]
	v_lshrrev_b32_e32 v10, 5, v72
	v_mul_u32_u24_e32 v10, 0x60, v10
	v_or_b32_e32 v34, v10, v116
	v_add_f64 v[10:11], v[26:27], v[66:67]
	v_fma_f64 v[26:27], v[24:25], s[6:7], v[6:7]
	v_add_f64 v[32:33], v[42:43], v[54:55]
	v_fma_f64 v[6:7], v[24:25], s[10:11], v[6:7]
	v_fma_f64 v[4:5], v[4:5], -0.5, v[97:98]
	v_lshl_add_u32 v77, v34, 3, 0
	ds_write2_b64 v77, v[10:11], v[26:27] offset1:32
	v_lshrrev_b32_e32 v10, 5, v73
	v_mul_lo_u32 v34, v10, s0
	v_add_f64 v[10:11], v[28:29], v[64:65]
	v_fma_f64 v[24:25], v[30:31], s[6:7], v[4:5]
	v_fma_f64 v[26:27], v[32:33], -0.5, v[95:96]
	v_add_f64 v[28:29], v[46:47], -v[38:39]
	v_add_f64 v[32:33], v[95:96], v[42:43]
	ds_write_b64 v77, v[6:7] offset:512
	v_add_f64 v[6:7], v[93:94], v[18:19]
	v_or_b32_e32 v34, v34, v113
	v_lshl_add_u32 v78, v34, 3, 0
	v_fma_f64 v[30:31], v[30:31], s[10:11], v[4:5]
	ds_write2_b64 v78, v[10:11], v[24:25] offset1:32
	v_fma_f64 v[52:53], v[28:29], s[6:7], v[26:27]
	v_add_f64 v[10:11], v[32:33], v[54:55]
	v_lshrrev_b32_e32 v24, 5, v56
	v_fma_f64 v[4:5], v[28:29], s[10:11], v[26:27]
	v_add_f64 v[6:7], v[6:7], v[20:21]
	v_mul_lo_u32 v24, v24, s0
	v_lshrrev_b32_e32 v25, 5, v57
	v_mul_lo_u32 v25, v25, s0
	ds_write_b64 v78, v[30:31] offset:512
	v_or_b32_e32 v24, v24, v114
	v_lshl_add_u32 v79, v24, 3, 0
	ds_write2_b64 v79, v[10:11], v[52:53] offset1:32
	v_or_b32_e32 v10, v25, v115
	v_lshl_add_u32 v80, v10, 3, 0
	ds_write_b64 v79, v[4:5] offset:512
	ds_write2_b64 v80, v[6:7], v[0:1] offset1:32
	ds_write_b64 v80, v[2:3] offset:512
	s_waitcnt lgkmcnt(0)
	; wave barrier
	s_waitcnt lgkmcnt(0)
	ds_read_b64 v[56:57], v74 offset:4608
	ds_read2_b64 v[24:27], v74 offset1:96
	ds_read2_b64 v[28:31], v81 offset0:64 offset1:160
	ds_read2_b64 v[32:35], v75 offset0:128 offset1:224
	v_cmp_gt_u32_e64 s[0:1], 40, v72
                                        ; implicit-def: $vgpr10_vgpr11
	s_and_saveexec_b64 s[12:13], s[0:1]
	s_cbranch_execz .LBB0_15
; %bb.14:
	ds_read_b64 v[52:53], v76
	ds_read2_b64 v[4:7], v74 offset0:152 offset1:248
	ds_read2_b64 v[0:3], v75 offset0:88 offset1:184
	;; [unrolled: 1-line block ×3, first 2 shown]
.LBB0_15:
	s_or_b64 exec, exec, s[12:13]
	v_add_f64 v[82:83], v[70:71], v[58:59]
	v_add_f64 v[66:67], v[68:69], -v[66:67]
	v_add_f64 v[68:69], v[16:17], v[62:63]
	v_add_f64 v[62:63], v[62:63], v[40:41]
	v_add_f64 v[60:61], v[60:61], -v[64:65]
	v_add_f64 v[64:65], v[46:47], v[38:39]
	v_add_f64 v[70:71], v[22:23], v[70:71]
	;; [unrolled: 1-line block ×3, first 2 shown]
	v_fma_f64 v[22:23], v[82:83], -0.5, v[22:23]
	v_add_f64 v[82:83], v[44:45], v[36:37]
	v_add_f64 v[42:43], v[42:43], -v[54:55]
	v_fma_f64 v[16:17], v[62:63], -0.5, v[16:17]
	v_add_f64 v[44:45], v[12:13], v[44:45]
	v_fma_f64 v[14:15], v[64:65], -0.5, v[14:15]
	v_add_f64 v[20:21], v[18:19], -v[20:21]
	v_add_f64 v[58:59], v[70:71], v[58:59]
	v_fma_f64 v[62:63], v[66:67], s[10:11], v[22:23]
	v_fma_f64 v[64:65], v[82:83], -0.5, v[12:13]
	v_fma_f64 v[22:23], v[66:67], s[6:7], v[22:23]
	v_add_f64 v[40:41], v[68:69], v[40:41]
	v_fma_f64 v[66:67], v[60:61], s[10:11], v[16:17]
	v_fma_f64 v[60:61], v[60:61], s[6:7], v[16:17]
	v_add_f64 v[38:39], v[46:47], v[38:39]
	v_fma_f64 v[54:55], v[42:43], s[10:11], v[14:15]
	;; [unrolled: 3-line block ×3, first 2 shown]
	v_fma_f64 v[14:15], v[20:21], s[6:7], v[64:65]
	s_waitcnt lgkmcnt(0)
	; wave barrier
	s_waitcnt lgkmcnt(0)
	ds_write2_b64 v77, v[58:59], v[62:63] offset1:32
	ds_write_b64 v77, v[22:23] offset:512
	ds_write2_b64 v78, v[40:41], v[66:67] offset1:32
	ds_write_b64 v78, v[60:61] offset:512
	;; [unrolled: 2-line block ×4, first 2 shown]
	s_waitcnt lgkmcnt(0)
	; wave barrier
	s_waitcnt lgkmcnt(0)
	ds_read2_b64 v[36:39], v74 offset1:96
	ds_read2_b64 v[40:43], v81 offset0:64 offset1:160
	ds_read2_b64 v[44:47], v75 offset0:128 offset1:224
	ds_read_b64 v[58:59], v74 offset:4608
                                        ; implicit-def: $vgpr22_vgpr23
	s_and_saveexec_b64 s[6:7], s[0:1]
	s_cbranch_execz .LBB0_17
; %bb.16:
	v_add_u32_e32 v12, 0x800, v74
	v_add_u32_e32 v20, 0x1000, v74
	ds_read_b64 v[54:55], v76
	ds_read2_b64 v[16:19], v74 offset0:152 offset1:248
	ds_read2_b64 v[12:15], v12 offset0:88 offset1:184
	;; [unrolled: 1-line block ×3, first 2 shown]
.LBB0_17:
	s_or_b64 exec, exec, s[6:7]
	s_and_saveexec_b64 s[6:7], vcc
	s_cbranch_execz .LBB0_20
; %bb.18:
	v_mul_u32_u24_e32 v60, 6, v72
	v_lshlrev_b32_e32 v86, 4, v60
	global_load_dwordx4 v[60:63], v86, s[8:9] offset:1504
	global_load_dwordx4 v[64:67], v86, s[8:9] offset:1584
	;; [unrolled: 1-line block ×6, first 2 shown]
	s_mov_b32 s10, 0xe976ee23
	s_mov_b32 s18, 0x37e14327
	;; [unrolled: 1-line block ×15, first 2 shown]
	v_mul_hi_u32 v86, v72, s22
	s_mov_b32 s25, 0xbfe77f67
	s_mov_b32 s22, s6
	;; [unrolled: 1-line block ×4, first 2 shown]
	v_mul_lo_u32 v100, s5, v50
	v_mul_lo_u32 v101, s4, v51
	v_mad_u64_u32 v[50:51], s[4:5], s4, v50, 0
	s_movk_i32 s28, 0x60
	v_lshrrev_b32_e32 v86, 6, v86
	s_mov_b32 s4, 0x37c3f68c
	v_mul_lo_u32 v86, v86, s28
	s_mov_b32 s5, 0x3fdc38aa
	v_add3_u32 v51, v51, v101, v100
	v_sub_u32_e32 v102, v72, v86
	v_mad_u64_u32 v[86:87], s[30:31], s2, v102, 0
	s_waitcnt vmcnt(5) lgkmcnt(3)
	v_mul_f64 v[88:89], v[38:39], v[62:63]
	s_waitcnt vmcnt(4) lgkmcnt(0)
	v_mul_f64 v[90:91], v[58:59], v[66:67]
	s_waitcnt vmcnt(3)
	v_mul_f64 v[92:93], v[44:45], v[70:71]
	s_waitcnt vmcnt(2)
	;; [unrolled: 2-line block ×4, first 2 shown]
	v_mul_f64 v[98:99], v[46:47], v[84:85]
	v_mul_f64 v[66:67], v[56:57], v[66:67]
	;; [unrolled: 1-line block ×7, first 2 shown]
	v_fma_f64 v[26:27], v[26:27], v[60:61], -v[88:89]
	v_fma_f64 v[56:57], v[56:57], v[64:65], -v[90:91]
	;; [unrolled: 1-line block ×6, first 2 shown]
	v_fma_f64 v[58:59], v[58:59], v[64:65], v[66:67]
	v_fma_f64 v[38:39], v[38:39], v[60:61], v[62:63]
	;; [unrolled: 1-line block ×6, first 2 shown]
	v_add_f64 v[61:62], v[26:27], -v[56:57]
	v_add_f64 v[63:64], v[32:33], -v[30:31]
	;; [unrolled: 1-line block ×3, first 2 shown]
	v_add_f64 v[67:68], v[38:39], v[58:59]
	v_add_f64 v[26:27], v[26:27], v[56:57]
	;; [unrolled: 1-line block ×6, first 2 shown]
	v_add_f64 v[32:33], v[38:39], -v[58:59]
	v_add_f64 v[34:35], v[44:45], -v[42:43]
	v_add_f64 v[38:39], v[40:41], -v[46:47]
	v_add_f64 v[40:41], v[61:62], -v[63:64]
	v_add_f64 v[42:43], v[63:64], -v[65:66]
	v_add_f64 v[44:45], v[63:64], v[65:66]
	v_add_f64 v[46:47], v[67:68], v[69:70]
	;; [unrolled: 1-line block ×3, first 2 shown]
	v_add_f64 v[56:57], v[67:68], -v[74:75]
	v_add_f64 v[58:59], v[74:75], -v[69:70]
	;; [unrolled: 1-line block ×6, first 2 shown]
	v_add_f64 v[34:35], v[34:35], v[38:39]
	v_add_f64 v[65:66], v[65:66], -v[61:62]
	v_add_f64 v[38:39], v[38:39], -v[32:33]
	v_add_f64 v[46:47], v[74:75], v[46:47]
	v_add_f64 v[30:31], v[30:31], v[63:64]
	v_add_f64 v[67:68], v[69:70], -v[67:68]
	v_add_f64 v[69:70], v[28:29], -v[26:27]
	v_mul_f64 v[42:43], v[42:43], s[10:11]
	v_add_f64 v[44:45], v[61:62], v[44:45]
	v_mul_f64 v[61:62], v[56:57], s[18:19]
	v_mul_f64 v[58:59], v[58:59], s[16:17]
	;; [unrolled: 1-line block ×5, first 2 shown]
	v_add_f64 v[32:33], v[32:33], v[34:35]
	v_mul_f64 v[34:35], v[65:66], s[20:21]
	v_mul_f64 v[82:83], v[38:39], s[20:21]
	v_add_f64 v[28:29], v[36:37], v[46:47]
	v_add_f64 v[26:27], v[24:25], v[30:31]
	v_fma_f64 v[84:85], v[40:41], s[6:7], v[42:43]
	v_fma_f64 v[36:37], v[56:57], s[18:19], v[58:59]
	;; [unrolled: 1-line block ×4, first 2 shown]
	v_fma_f64 v[34:35], v[40:41], s[22:23], -v[34:35]
	v_fma_f64 v[40:41], v[67:68], s[24:25], -v[61:62]
	;; [unrolled: 1-line block ×4, first 2 shown]
	v_fma_f64 v[46:47], v[46:47], s[12:13], v[28:29]
	v_fma_f64 v[30:31], v[30:31], s[12:13], v[26:27]
	v_fma_f64 v[58:59], v[67:68], s[26:27], -v[58:59]
	v_fma_f64 v[42:43], v[65:66], s[20:21], -v[42:43]
	;; [unrolled: 1-line block ×4, first 2 shown]
	v_fma_f64 v[69:70], v[32:33], s[4:5], v[56:57]
	v_fma_f64 v[56:57], v[44:45], s[4:5], v[34:35]
	;; [unrolled: 1-line block ×3, first 2 shown]
	v_add_f64 v[24:25], v[24:25], v[30:31]
	v_add_f64 v[78:79], v[40:41], v[46:47]
	;; [unrolled: 1-line block ×3, first 2 shown]
	v_fma_f64 v[67:68], v[44:45], s[4:5], v[84:85]
	v_fma_f64 v[42:43], v[44:45], s[4:5], v[42:43]
	;; [unrolled: 1-line block ×3, first 2 shown]
	v_add_f64 v[76:77], v[36:37], v[46:47]
	v_add_f64 v[44:45], v[58:59], v[46:47]
	;; [unrolled: 1-line block ×3, first 2 shown]
	v_mov_b32_e32 v60, v87
	v_mad_u64_u32 v[65:66], s[30:31], s3, v102, v[60:61]
	v_add_f64 v[30:31], v[24:25], -v[69:70]
	v_add_f64 v[36:37], v[56:57], v[78:79]
	v_add_f64 v[34:35], v[61:62], -v[63:64]
	v_add_f64 v[58:59], v[78:79], -v[56:57]
	v_add_f64 v[56:57], v[63:64], v[61:62]
	v_add_f64 v[60:61], v[69:70], v[24:25]
	v_lshlrev_b64 v[24:25], 4, v[50:51]
	v_add_f64 v[40:41], v[44:45], -v[42:43]
	v_add_f64 v[38:39], v[74:75], v[46:47]
	v_add_f64 v[44:45], v[42:43], v[44:45]
	v_add_f64 v[42:43], v[46:47], -v[74:75]
	v_mov_b32_e32 v46, s15
	v_add_co_u32_e32 v47, vcc, s14, v24
	v_add_u32_e32 v50, 0x60, v102
	v_addc_co_u32_e32 v46, vcc, v46, v25, vcc
	v_lshlrev_b64 v[24:25], 4, v[48:49]
	v_mad_u64_u32 v[48:49], s[14:15], s2, v50, 0
	v_mov_b32_e32 v87, v65
	v_add_co_u32_e32 v24, vcc, v47, v24
	v_mad_u64_u32 v[49:50], s[14:15], s3, v50, v[49:50]
	v_add_u32_e32 v64, 0xc0, v102
	v_addc_co_u32_e32 v25, vcc, v46, v25, vcc
	v_lshlrev_b64 v[46:47], 4, v[86:87]
	v_mad_u64_u32 v[50:51], s[14:15], s2, v64, 0
	v_add_co_u32_e32 v46, vcc, v24, v46
	v_addc_co_u32_e32 v47, vcc, v25, v47, vcc
	global_store_dwordx4 v[46:47], v[26:29], off
	v_add_f64 v[62:63], v[76:77], -v[67:68]
	v_mov_b32_e32 v28, v51
	v_mad_u64_u32 v[28:29], s[14:15], s3, v64, v[28:29]
	v_add_u32_e32 v46, 0x120, v102
	v_lshlrev_b64 v[26:27], 4, v[48:49]
	v_mov_b32_e32 v51, v28
	v_mad_u64_u32 v[28:29], s[14:15], s2, v46, 0
	v_add_co_u32_e32 v26, vcc, v24, v26
	v_addc_co_u32_e32 v27, vcc, v25, v27, vcc
	v_mad_u64_u32 v[46:47], s[14:15], s3, v46, v[29:30]
	v_or_b32_e32 v49, 0x180, v102
	global_store_dwordx4 v[26:27], v[60:63], off
	v_lshlrev_b64 v[26:27], 4, v[50:51]
	v_mad_u64_u32 v[47:48], s[14:15], s2, v49, 0
	v_add_co_u32_e32 v26, vcc, v24, v26
	v_addc_co_u32_e32 v27, vcc, v25, v27, vcc
	v_mov_b32_e32 v29, v46
	global_store_dwordx4 v[26:27], v[56:59], off
	v_lshlrev_b64 v[26:27], 4, v[28:29]
	v_mov_b32_e32 v28, v48
	v_mad_u64_u32 v[28:29], s[14:15], s3, v49, v[28:29]
	v_add_co_u32_e32 v26, vcc, v24, v26
	v_addc_co_u32_e32 v27, vcc, v25, v27, vcc
	global_store_dwordx4 v[26:27], v[42:45], off
	v_mov_b32_e32 v48, v28
	v_add_u32_e32 v42, 0x1e0, v102
	v_mad_u64_u32 v[28:29], s[14:15], s2, v42, 0
	v_add_u32_e32 v45, 0x240, v102
	v_lshlrev_b64 v[26:27], 4, v[47:48]
	v_mad_u64_u32 v[42:43], s[14:15], s3, v42, v[29:30]
	v_mad_u64_u32 v[43:44], s[14:15], s2, v45, 0
	v_add_co_u32_e32 v26, vcc, v24, v26
	v_addc_co_u32_e32 v27, vcc, v25, v27, vcc
	v_mov_b32_e32 v29, v42
	global_store_dwordx4 v[26:27], v[38:41], off
	v_lshlrev_b64 v[26:27], 4, v[28:29]
	v_mov_b32_e32 v28, v44
	v_mad_u64_u32 v[28:29], s[14:15], s3, v45, v[28:29]
	v_add_f64 v[32:33], v[67:68], v[76:77]
	v_add_co_u32_e32 v26, vcc, v24, v26
	v_addc_co_u32_e32 v27, vcc, v25, v27, vcc
	v_mov_b32_e32 v44, v28
	global_store_dwordx4 v[26:27], v[34:37], off
	v_lshlrev_b64 v[26:27], 4, v[43:44]
	v_add_co_u32_e32 v26, vcc, v24, v26
	v_addc_co_u32_e32 v27, vcc, v25, v27, vcc
	global_store_dwordx4 v[26:27], v[30:33], off
	v_add_u32_e32 v26, 56, v72
	v_cmp_gt_u32_e32 vcc, s28, v26
	s_and_b64 exec, exec, vcc
	s_cbranch_execz .LBB0_20
; %bb.19:
	v_subrev_u32_e32 v27, 40, v72
	v_cndmask_b32_e64 v27, v27, v73, s[0:1]
	v_mul_i32_i24_e32 v27, 6, v27
	v_mov_b32_e32 v28, 0
	v_lshlrev_b64 v[27:28], 4, v[27:28]
	v_mov_b32_e32 v29, s9
	v_add_co_u32_e32 v56, vcc, s8, v27
	v_addc_co_u32_e32 v57, vcc, v29, v28, vcc
	global_load_dwordx4 v[27:30], v[56:57], off offset:1504
	global_load_dwordx4 v[31:34], v[56:57], off offset:1520
	;; [unrolled: 1-line block ×6, first 2 shown]
	v_mad_u64_u32 v[56:57], s[0:1], s2, v26, 0
	v_add_u32_e32 v66, 0x98, v72
	v_add_u32_e32 v67, 0xf8, v72
	v_mad_u64_u32 v[58:59], s[0:1], s2, v66, 0
	v_mad_u64_u32 v[60:61], s[0:1], s2, v67, 0
	v_mov_b32_e32 v51, v57
	v_mad_u64_u32 v[64:65], s[0:1], s3, v26, v[51:52]
	v_mov_b32_e32 v26, v59
	v_mov_b32_e32 v51, v61
	;; [unrolled: 1-line block ×3, first 2 shown]
	v_lshlrev_b64 v[56:57], 4, v[56:57]
	v_add_u32_e32 v77, 0x158, v72
	v_add_co_u32_e32 v56, vcc, v24, v56
	v_addc_co_u32_e32 v57, vcc, v25, v57, vcc
	v_mad_u64_u32 v[62:63], s[0:1], s2, v77, 0
	s_waitcnt vmcnt(5)
	v_mad_u64_u32 v[65:66], s[0:1], s3, v66, v[26:27]
	v_mad_u64_u32 v[66:67], s[0:1], s3, v67, v[51:52]
	v_mov_b32_e32 v59, v65
	v_mul_f64 v[64:65], v[16:17], v[29:30]
	v_mov_b32_e32 v61, v66
	v_mul_f64 v[29:30], v[4:5], v[29:30]
	s_waitcnt vmcnt(4)
	v_mul_f64 v[66:67], v[18:19], v[33:34]
	v_mul_f64 v[33:34], v[6:7], v[33:34]
	s_waitcnt vmcnt(1)
	v_mul_f64 v[73:74], v[22:23], v[45:46]
	;; [unrolled: 3-line block ×3, first 2 shown]
	v_mul_f64 v[49:50], v[8:9], v[49:50]
	v_mul_f64 v[68:69], v[12:13], v[37:38]
	;; [unrolled: 1-line block ×5, first 2 shown]
	v_fma_f64 v[4:5], v[4:5], v[27:28], -v[64:65]
	v_fma_f64 v[16:17], v[16:17], v[27:28], v[29:30]
	v_fma_f64 v[6:7], v[6:7], v[31:32], -v[66:67]
	v_fma_f64 v[18:19], v[18:19], v[31:32], v[33:34]
	;; [unrolled: 2-line block ×6, first 2 shown]
	v_add_f64 v[26:27], v[4:5], v[10:11]
	v_add_f64 v[28:29], v[16:17], v[22:23]
	v_add_f64 v[4:5], v[4:5], -v[10:11]
	v_add_f64 v[10:11], v[16:17], -v[22:23]
	v_add_f64 v[16:17], v[6:7], v[8:9]
	v_add_f64 v[22:23], v[18:19], v[20:21]
	v_add_f64 v[6:7], v[6:7], -v[8:9]
	v_add_f64 v[8:9], v[18:19], -v[20:21]
	;; [unrolled: 4-line block ×4, first 2 shown]
	v_add_f64 v[26:27], v[26:27], -v[18:19]
	v_add_f64 v[28:29], v[28:29], -v[20:21]
	;; [unrolled: 1-line block ×4, first 2 shown]
	v_add_f64 v[34:35], v[0:1], v[6:7]
	v_add_f64 v[36:37], v[2:3], v[8:9]
	v_add_f64 v[38:39], v[0:1], -v[6:7]
	v_add_f64 v[40:41], v[2:3], -v[8:9]
	v_add_f64 v[12:13], v[18:19], v[12:13]
	v_add_f64 v[14:15], v[20:21], v[14:15]
	v_add_f64 v[42:43], v[4:5], -v[0:1]
	v_add_f64 v[44:45], v[10:11], -v[2:3]
	;; [unrolled: 1-line block ×4, first 2 shown]
	v_add_f64 v[4:5], v[34:35], v[4:5]
	v_add_f64 v[10:11], v[36:37], v[10:11]
	v_mul_f64 v[18:19], v[26:27], s[18:19]
	v_mul_f64 v[20:21], v[28:29], s[18:19]
	;; [unrolled: 1-line block ×6, first 2 shown]
	v_add_f64 v[0:1], v[52:53], v[12:13]
	v_add_f64 v[2:3], v[54:55], v[14:15]
	v_mul_f64 v[38:39], v[6:7], s[20:21]
	v_fma_f64 v[16:17], v[16:17], s[16:17], v[18:19]
	v_fma_f64 v[22:23], v[22:23], s[16:17], v[20:21]
	v_fma_f64 v[26:27], v[30:31], s[26:27], -v[26:27]
	v_fma_f64 v[28:29], v[32:33], s[26:27], -v[28:29]
	;; [unrolled: 1-line block ×4, first 2 shown]
	v_fma_f64 v[30:31], v[42:43], s[6:7], v[34:35]
	v_fma_f64 v[32:33], v[44:45], s[6:7], v[36:37]
	v_fma_f64 v[12:13], v[12:13], s[12:13], v[0:1]
	v_fma_f64 v[14:15], v[14:15], s[12:13], v[2:3]
	v_mul_f64 v[40:41], v[8:9], s[20:21]
	v_fma_f64 v[6:7], v[6:7], s[20:21], -v[34:35]
	v_fma_f64 v[34:35], v[42:43], s[22:23], -v[38:39]
	;; [unrolled: 1-line block ×3, first 2 shown]
	v_fma_f64 v[30:31], v[4:5], s[4:5], v[30:31]
	v_fma_f64 v[32:33], v[10:11], s[4:5], v[32:33]
	v_add_f64 v[42:43], v[16:17], v[12:13]
	v_add_f64 v[22:23], v[22:23], v[14:15]
	v_fma_f64 v[36:37], v[44:45], s[22:23], -v[40:41]
	global_store_dwordx4 v[56:57], v[0:3], off
	v_fma_f64 v[38:39], v[4:5], s[4:5], v[6:7]
	v_fma_f64 v[34:35], v[4:5], s[4:5], v[34:35]
	v_add_f64 v[16:17], v[26:27], v[12:13]
	v_add_f64 v[26:27], v[28:29], v[14:15]
	;; [unrolled: 1-line block ×3, first 2 shown]
	v_add_f64 v[2:3], v[22:23], -v[30:31]
	v_fma_f64 v[36:37], v[10:11], s[4:5], v[36:37]
	v_add_f64 v[18:19], v[18:19], v[12:13]
	v_add_f64 v[20:21], v[20:21], v[14:15]
	v_lshlrev_b64 v[58:59], 4, v[58:59]
	v_fma_f64 v[40:41], v[10:11], s[4:5], v[8:9]
	v_add_co_u32_e32 v28, vcc, v24, v58
	v_addc_co_u32_e32 v29, vcc, v25, v59, vcc
	global_store_dwordx4 v[28:29], v[0:3], off
	v_add_f64 v[4:5], v[36:37], v[18:19]
	v_mov_b32_e32 v2, v63
	v_mad_u64_u32 v[2:3], s[0:1], s3, v77, v[2:3]
	v_add_u32_e32 v3, 0x1b8, v72
	v_add_f64 v[6:7], v[20:21], -v[34:35]
	v_add_f64 v[10:11], v[38:39], v[26:27]
	v_add_f64 v[14:15], v[26:27], -v[38:39]
	v_mad_u64_u32 v[26:27], s[0:1], s2, v3, 0
	v_lshlrev_b64 v[60:61], 4, v[60:61]
	v_mov_b32_e32 v63, v2
	v_mov_b32_e32 v2, v27
	v_mad_u64_u32 v[2:3], s[0:1], s3, v3, v[2:3]
	v_add_f64 v[8:9], v[16:17], -v[40:41]
	v_add_co_u32_e32 v0, vcc, v24, v60
	v_addc_co_u32_e32 v1, vcc, v25, v61, vcc
	global_store_dwordx4 v[0:1], v[4:7], off
	v_mov_b32_e32 v27, v2
	v_add_u32_e32 v4, 0x218, v72
	v_mad_u64_u32 v[2:3], s[0:1], s2, v4, 0
	v_add_f64 v[12:13], v[40:41], v[16:17]
	v_lshlrev_b64 v[0:1], 4, v[62:63]
	v_mad_u64_u32 v[3:4], s[0:1], s3, v4, v[3:4]
	v_add_co_u32_e32 v0, vcc, v24, v0
	v_addc_co_u32_e32 v1, vcc, v25, v1, vcc
	v_add_u32_e32 v6, 0x278, v72
	global_store_dwordx4 v[0:1], v[8:11], off
	v_lshlrev_b64 v[0:1], 4, v[26:27]
	v_mad_u64_u32 v[4:5], s[0:1], s2, v6, 0
	v_add_f64 v[16:17], v[18:19], -v[36:37]
	v_add_f64 v[18:19], v[34:35], v[20:21]
	v_add_co_u32_e32 v0, vcc, v24, v0
	v_addc_co_u32_e32 v1, vcc, v25, v1, vcc
	global_store_dwordx4 v[0:1], v[12:15], off
	v_lshlrev_b64 v[0:1], 4, v[2:3]
	v_mov_b32_e32 v2, v5
	v_mad_u64_u32 v[2:3], s[0:1], s3, v6, v[2:3]
	v_add_f64 v[20:21], v[42:43], -v[32:33]
	v_add_f64 v[22:23], v[30:31], v[22:23]
	v_add_co_u32_e32 v0, vcc, v24, v0
	v_addc_co_u32_e32 v1, vcc, v25, v1, vcc
	v_mov_b32_e32 v5, v2
	global_store_dwordx4 v[0:1], v[16:19], off
	v_lshlrev_b64 v[0:1], 4, v[4:5]
	v_add_co_u32_e32 v0, vcc, v24, v0
	v_addc_co_u32_e32 v1, vcc, v25, v1, vcc
	global_store_dwordx4 v[0:1], v[20:23], off
.LBB0_20:
	s_endpgm
	.section	.rodata,"a",@progbits
	.p2align	6, 0x0
	.amdhsa_kernel fft_rtc_fwd_len672_factors_2_2_2_2_2_3_7_wgs_56_tpt_56_halfLds_dp_op_CI_CI_sbrr_dirReg
		.amdhsa_group_segment_fixed_size 0
		.amdhsa_private_segment_fixed_size 0
		.amdhsa_kernarg_size 104
		.amdhsa_user_sgpr_count 6
		.amdhsa_user_sgpr_private_segment_buffer 1
		.amdhsa_user_sgpr_dispatch_ptr 0
		.amdhsa_user_sgpr_queue_ptr 0
		.amdhsa_user_sgpr_kernarg_segment_ptr 1
		.amdhsa_user_sgpr_dispatch_id 0
		.amdhsa_user_sgpr_flat_scratch_init 0
		.amdhsa_user_sgpr_private_segment_size 0
		.amdhsa_uses_dynamic_stack 0
		.amdhsa_system_sgpr_private_segment_wavefront_offset 0
		.amdhsa_system_sgpr_workgroup_id_x 1
		.amdhsa_system_sgpr_workgroup_id_y 0
		.amdhsa_system_sgpr_workgroup_id_z 0
		.amdhsa_system_sgpr_workgroup_info 0
		.amdhsa_system_vgpr_workitem_id 0
		.amdhsa_next_free_vgpr 117
		.amdhsa_next_free_sgpr 32
		.amdhsa_reserve_vcc 1
		.amdhsa_reserve_flat_scratch 0
		.amdhsa_float_round_mode_32 0
		.amdhsa_float_round_mode_16_64 0
		.amdhsa_float_denorm_mode_32 3
		.amdhsa_float_denorm_mode_16_64 3
		.amdhsa_dx10_clamp 1
		.amdhsa_ieee_mode 1
		.amdhsa_fp16_overflow 0
		.amdhsa_exception_fp_ieee_invalid_op 0
		.amdhsa_exception_fp_denorm_src 0
		.amdhsa_exception_fp_ieee_div_zero 0
		.amdhsa_exception_fp_ieee_overflow 0
		.amdhsa_exception_fp_ieee_underflow 0
		.amdhsa_exception_fp_ieee_inexact 0
		.amdhsa_exception_int_div_zero 0
	.end_amdhsa_kernel
	.text
.Lfunc_end0:
	.size	fft_rtc_fwd_len672_factors_2_2_2_2_2_3_7_wgs_56_tpt_56_halfLds_dp_op_CI_CI_sbrr_dirReg, .Lfunc_end0-fft_rtc_fwd_len672_factors_2_2_2_2_2_3_7_wgs_56_tpt_56_halfLds_dp_op_CI_CI_sbrr_dirReg
                                        ; -- End function
	.section	.AMDGPU.csdata,"",@progbits
; Kernel info:
; codeLenInByte = 10108
; NumSgprs: 36
; NumVgprs: 117
; ScratchSize: 0
; MemoryBound: 1
; FloatMode: 240
; IeeeMode: 1
; LDSByteSize: 0 bytes/workgroup (compile time only)
; SGPRBlocks: 4
; VGPRBlocks: 29
; NumSGPRsForWavesPerEU: 36
; NumVGPRsForWavesPerEU: 117
; Occupancy: 2
; WaveLimiterHint : 1
; COMPUTE_PGM_RSRC2:SCRATCH_EN: 0
; COMPUTE_PGM_RSRC2:USER_SGPR: 6
; COMPUTE_PGM_RSRC2:TRAP_HANDLER: 0
; COMPUTE_PGM_RSRC2:TGID_X_EN: 1
; COMPUTE_PGM_RSRC2:TGID_Y_EN: 0
; COMPUTE_PGM_RSRC2:TGID_Z_EN: 0
; COMPUTE_PGM_RSRC2:TIDIG_COMP_CNT: 0
	.type	__hip_cuid_82d03ac7e28cb0b6,@object ; @__hip_cuid_82d03ac7e28cb0b6
	.section	.bss,"aw",@nobits
	.globl	__hip_cuid_82d03ac7e28cb0b6
__hip_cuid_82d03ac7e28cb0b6:
	.byte	0                               ; 0x0
	.size	__hip_cuid_82d03ac7e28cb0b6, 1

	.ident	"AMD clang version 19.0.0git (https://github.com/RadeonOpenCompute/llvm-project roc-6.4.0 25133 c7fe45cf4b819c5991fe208aaa96edf142730f1d)"
	.section	".note.GNU-stack","",@progbits
	.addrsig
	.addrsig_sym __hip_cuid_82d03ac7e28cb0b6
	.amdgpu_metadata
---
amdhsa.kernels:
  - .args:
      - .actual_access:  read_only
        .address_space:  global
        .offset:         0
        .size:           8
        .value_kind:     global_buffer
      - .offset:         8
        .size:           8
        .value_kind:     by_value
      - .actual_access:  read_only
        .address_space:  global
        .offset:         16
        .size:           8
        .value_kind:     global_buffer
      - .actual_access:  read_only
        .address_space:  global
        .offset:         24
        .size:           8
        .value_kind:     global_buffer
      - .actual_access:  read_only
        .address_space:  global
        .offset:         32
        .size:           8
        .value_kind:     global_buffer
      - .offset:         40
        .size:           8
        .value_kind:     by_value
      - .actual_access:  read_only
        .address_space:  global
        .offset:         48
        .size:           8
        .value_kind:     global_buffer
      - .actual_access:  read_only
        .address_space:  global
        .offset:         56
        .size:           8
        .value_kind:     global_buffer
      - .offset:         64
        .size:           4
        .value_kind:     by_value
      - .actual_access:  read_only
        .address_space:  global
        .offset:         72
        .size:           8
        .value_kind:     global_buffer
      - .actual_access:  read_only
        .address_space:  global
        .offset:         80
        .size:           8
        .value_kind:     global_buffer
      - .actual_access:  read_only
        .address_space:  global
        .offset:         88
        .size:           8
        .value_kind:     global_buffer
      - .actual_access:  write_only
        .address_space:  global
        .offset:         96
        .size:           8
        .value_kind:     global_buffer
    .group_segment_fixed_size: 0
    .kernarg_segment_align: 8
    .kernarg_segment_size: 104
    .language:       OpenCL C
    .language_version:
      - 2
      - 0
    .max_flat_workgroup_size: 56
    .name:           fft_rtc_fwd_len672_factors_2_2_2_2_2_3_7_wgs_56_tpt_56_halfLds_dp_op_CI_CI_sbrr_dirReg
    .private_segment_fixed_size: 0
    .sgpr_count:     36
    .sgpr_spill_count: 0
    .symbol:         fft_rtc_fwd_len672_factors_2_2_2_2_2_3_7_wgs_56_tpt_56_halfLds_dp_op_CI_CI_sbrr_dirReg.kd
    .uniform_work_group_size: 1
    .uses_dynamic_stack: false
    .vgpr_count:     117
    .vgpr_spill_count: 0
    .wavefront_size: 64
amdhsa.target:   amdgcn-amd-amdhsa--gfx906
amdhsa.version:
  - 1
  - 2
...

	.end_amdgpu_metadata
